;; amdgpu-corpus repo=ROCm/rocFFT kind=compiled arch=gfx950 opt=O3
	.text
	.amdgcn_target "amdgcn-amd-amdhsa--gfx950"
	.amdhsa_code_object_version 6
	.protected	fft_rtc_fwd_len625_factors_5_5_5_5_wgs_125_tpt_125_sp_op_CI_CI_sbrc_unaligned ; -- Begin function fft_rtc_fwd_len625_factors_5_5_5_5_wgs_125_tpt_125_sp_op_CI_CI_sbrc_unaligned
	.globl	fft_rtc_fwd_len625_factors_5_5_5_5_wgs_125_tpt_125_sp_op_CI_CI_sbrc_unaligned
	.p2align	8
	.type	fft_rtc_fwd_len625_factors_5_5_5_5_wgs_125_tpt_125_sp_op_CI_CI_sbrc_unaligned,@function
fft_rtc_fwd_len625_factors_5_5_5_5_wgs_125_tpt_125_sp_op_CI_CI_sbrc_unaligned: ; @fft_rtc_fwd_len625_factors_5_5_5_5_wgs_125_tpt_125_sp_op_CI_CI_sbrc_unaligned
; %bb.0:
	s_load_dwordx8 s[4:11], s[0:1], 0x0
	s_mov_b32 s26, 0
	s_mov_b64 s[30:31], 2
	s_mov_b32 s3, s26
	s_waitcnt lgkmcnt(0)
	s_load_dword s33, s[8:9], 0x8
	s_load_dwordx4 s[16:19], s[0:1], 0x58
	s_load_dwordx2 s[24:25], s[0:1], 0x20
	s_load_dwordx4 s[20:23], s[10:11], 0x0
	v_cmp_gt_u64_e64 s[0:1], s[6:7], 2
	s_waitcnt lgkmcnt(0)
	v_cvt_f32_u32_e32 v1, s33
	s_load_dwordx4 s[12:15], s[24:25], 0x0
	s_waitcnt lgkmcnt(0)
	s_sub_i32 s15, 0, s33
	v_rcp_iflag_f32_e32 v1, v1
	s_nop 0
	v_mul_f32_e32 v1, 0x4f7ffffe, v1
	v_cvt_u32_f32_e32 v1, v1
	s_nop 0
	v_readfirstlane_b32 s23, v1
	s_mul_i32 s15, s15, s23
	s_mul_hi_u32 s15, s23, s15
	s_add_i32 s23, s23, s15
	s_mul_hi_u32 s15, s2, s23
	s_mul_i32 s23, s15, s33
	s_sub_i32 s23, s2, s23
	s_add_i32 s27, s15, 1
	s_sub_i32 s28, s23, s33
	s_cmp_ge_u32 s23, s33
	s_cselect_b32 s15, s27, s15
	s_cselect_b32 s23, s28, s23
	s_add_i32 s27, s15, 1
	s_cmp_ge_u32 s23, s33
	s_cselect_b32 s15, s27, s15
	s_and_b64 vcc, exec, s[0:1]
	s_mul_i32 s0, s15, s33
	s_sub_i32 s23, s2, s0
	s_mul_i32 s0, s13, s23
	s_mul_hi_u32 s1, s12, s23
	s_mul_i32 s38, s23, s22
	s_mul_i32 s12, s12, s23
	s_add_i32 s13, s1, s0
	s_cbranch_vccz .LBB0_9
; %bb.1:
	s_mov_b32 s28, 3
	v_mov_b64_e32 v[2:3], s[6:7]
	s_mov_b32 s39, s33
.LBB0_2:                                ; =>This Inner Loop Header: Depth=1
	s_lshl_b64 s[30:31], s[30:31], 3
	s_add_u32 s0, s8, s30
	s_addc_u32 s1, s9, s31
	s_load_dwordx2 s[34:35], s[0:1], 0x0
	s_waitcnt lgkmcnt(0)
	s_mov_b32 s27, s35
	s_cmp_lg_u64 s[26:27], 0
	s_cbranch_scc0 .LBB0_7
; %bb.3:                                ;   in Loop: Header=BB0_2 Depth=1
	v_cvt_f32_u32_e32 v1, s34
	v_cvt_f32_u32_e32 v4, s35
	s_sub_u32 s0, 0, s34
	s_subb_u32 s1, 0, s35
	v_fmac_f32_e32 v1, 0x4f800000, v4
	v_rcp_f32_e32 v1, v1
	s_nop 0
	v_mul_f32_e32 v1, 0x5f7ffffc, v1
	v_mul_f32_e32 v4, 0x2f800000, v1
	v_trunc_f32_e32 v4, v4
	v_fmac_f32_e32 v1, 0xcf800000, v4
	v_cvt_u32_f32_e32 v4, v4
	v_cvt_u32_f32_e32 v1, v1
	v_readfirstlane_b32 s27, v4
	v_readfirstlane_b32 s29, v1
	s_mul_i32 s36, s0, s27
	s_mul_hi_u32 s40, s0, s29
	s_mul_i32 s37, s1, s29
	s_add_i32 s36, s40, s36
	s_mul_i32 s41, s0, s29
	s_add_i32 s36, s36, s37
	s_mul_hi_u32 s37, s29, s36
	s_mul_i32 s40, s29, s36
	s_mul_hi_u32 s29, s29, s41
	s_add_u32 s29, s29, s40
	s_addc_u32 s37, 0, s37
	s_mul_hi_u32 s42, s27, s41
	s_mul_i32 s41, s27, s41
	s_add_u32 s29, s29, s41
	s_mul_hi_u32 s40, s27, s36
	s_addc_u32 s29, s37, s42
	s_addc_u32 s37, s40, 0
	s_mul_i32 s36, s27, s36
	s_add_u32 s29, s29, s36
	s_addc_u32 s36, 0, s37
	v_add_co_u32_e32 v1, vcc, s29, v1
	s_cmp_lg_u64 vcc, 0
	s_addc_u32 s27, s27, s36
	v_readfirstlane_b32 s36, v1
	s_mul_i32 s29, s0, s27
	s_mul_hi_u32 s37, s0, s36
	s_add_i32 s29, s37, s29
	s_mul_i32 s1, s1, s36
	s_add_i32 s29, s29, s1
	s_mul_i32 s0, s0, s36
	s_mul_hi_u32 s37, s27, s0
	s_mul_i32 s40, s27, s0
	s_mul_i32 s42, s36, s29
	s_mul_hi_u32 s0, s36, s0
	s_mul_hi_u32 s41, s36, s29
	s_add_u32 s0, s0, s42
	s_addc_u32 s36, 0, s41
	s_add_u32 s0, s0, s40
	s_mul_hi_u32 s1, s27, s29
	s_addc_u32 s0, s36, s37
	s_addc_u32 s1, s1, 0
	s_mul_i32 s29, s27, s29
	s_add_u32 s0, s0, s29
	s_addc_u32 s1, 0, s1
	v_add_co_u32_e32 v1, vcc, s0, v1
	s_cmp_lg_u64 vcc, 0
	s_addc_u32 s0, s27, s1
	v_readfirstlane_b32 s27, v1
	s_mul_hi_u32 s1, s15, s0
	s_mul_i32 s0, s15, s0
	s_mul_hi_u32 s27, s15, s27
	s_add_u32 s0, s27, s0
	s_addc_u32 s27, 0, s1
	s_mul_i32 s0, s35, s27
	s_mul_hi_u32 s1, s34, s27
	s_add_i32 s29, s1, s0
	s_mul_i32 s1, s34, s27
	v_mov_b32_e32 v1, s1
	s_sub_i32 s0, 0, s29
	v_sub_co_u32_e32 v1, vcc, s15, v1
	s_cmp_lg_u64 vcc, 0
	s_subb_u32 s36, s0, s35
	v_subrev_co_u32_e64 v4, s[0:1], s34, v1
	s_cmp_lg_u64 s[0:1], 0
	s_subb_u32 s0, s36, 0
	s_cmp_ge_u32 s0, s35
	v_readfirstlane_b32 s36, v4
	s_cselect_b32 s1, -1, 0
	s_cmp_ge_u32 s36, s34
	s_cselect_b32 s36, -1, 0
	s_cmp_eq_u32 s0, s35
	s_cselect_b32 s0, s36, s1
	s_add_u32 s1, s27, 1
	s_addc_u32 s36, 0, 0
	s_add_u32 s37, s27, 2
	s_addc_u32 s40, 0, 0
	s_cmp_lg_u32 s0, 0
	s_cselect_b32 s0, s37, s1
	s_cselect_b32 s1, s40, s36
	s_cmp_lg_u64 vcc, 0
	s_subb_u32 s29, 0, s29
	s_cmp_ge_u32 s29, s35
	v_readfirstlane_b32 s37, v1
	s_cselect_b32 s36, -1, 0
	s_cmp_ge_u32 s37, s34
	s_cselect_b32 s37, -1, 0
	s_cmp_eq_u32 s29, s35
	s_cselect_b32 s29, s37, s36
	s_cmp_lg_u32 s29, 0
	s_cselect_b32 s1, s1, 0
	s_cselect_b32 s0, s0, s27
	s_cbranch_execnz .LBB0_5
.LBB0_4:                                ;   in Loop: Header=BB0_2 Depth=1
	v_cvt_f32_u32_e32 v1, s34
	s_sub_i32 s0, 0, s34
	v_rcp_iflag_f32_e32 v1, v1
	s_nop 0
	v_mul_f32_e32 v1, 0x4f7ffffe, v1
	v_cvt_u32_f32_e32 v1, v1
	s_nop 0
	v_readfirstlane_b32 s1, v1
	s_mul_i32 s0, s0, s1
	s_mul_hi_u32 s0, s1, s0
	s_add_i32 s1, s1, s0
	s_mul_hi_u32 s0, s15, s1
	s_mul_i32 s27, s0, s34
	s_sub_i32 s27, s15, s27
	s_add_i32 s1, s0, 1
	s_sub_i32 s29, s27, s34
	s_cmp_ge_u32 s27, s34
	s_cselect_b32 s0, s1, s0
	s_cselect_b32 s27, s29, s27
	s_add_i32 s1, s0, 1
	s_cmp_ge_u32 s27, s34
	s_cselect_b32 s0, s1, s0
	s_mov_b32 s1, s26
.LBB0_5:                                ;   in Loop: Header=BB0_2 Depth=1
	s_mul_i32 s27, s0, s35
	s_mul_hi_u32 s29, s0, s34
	s_add_i32 s27, s29, s27
	s_mul_i32 s1, s1, s34
	s_add_i32 s27, s27, s1
	s_mul_i32 s1, s0, s34
	s_sub_u32 s1, s15, s1
	s_subb_u32 s15, 0, s27
	s_add_u32 s36, s10, s30
	s_addc_u32 s37, s11, s31
	s_load_dwordx2 s[36:37], s[36:37], 0x0
	s_mul_i32 s39, s39, s34
	s_waitcnt lgkmcnt(0)
	s_mul_i32 s27, s36, s15
	s_mul_hi_u32 s29, s36, s1
	s_add_i32 s27, s29, s27
	s_mul_i32 s29, s37, s1
	s_add_i32 s27, s27, s29
	s_mul_i32 s29, s36, s1
	s_add_u32 s38, s29, s38
	s_addc_u32 s3, s27, s3
	s_add_u32 s30, s24, s30
	s_addc_u32 s31, s25, s31
	s_load_dwordx2 s[30:31], s[30:31], 0x0
	s_mov_b32 s29, s26
	v_cmp_ge_u64_e32 vcc, s[28:29], v[2:3]
	s_waitcnt lgkmcnt(0)
	s_mul_i32 s15, s30, s15
	s_mul_hi_u32 s27, s30, s1
	s_add_i32 s15, s27, s15
	s_mul_i32 s27, s31, s1
	s_add_i32 s15, s15, s27
	s_mul_i32 s1, s30, s1
	s_add_u32 s12, s1, s12
	s_addc_u32 s13, s15, s13
	s_mov_b64 s[30:31], s[28:29]
	s_add_i32 s28, s28, 1
	s_cbranch_vccnz .LBB0_8
; %bb.6:                                ;   in Loop: Header=BB0_2 Depth=1
	s_mov_b32 s15, s0
	s_branch .LBB0_2
.LBB0_7:                                ;   in Loop: Header=BB0_2 Depth=1
                                        ; implicit-def: $sgpr0_sgpr1
	s_branch .LBB0_4
.LBB0_8:
	v_cvt_f32_u32_e32 v1, s39
	s_sub_i32 s0, 0, s39
	v_rcp_iflag_f32_e32 v1, v1
	s_nop 0
	v_mul_f32_e32 v1, 0x4f7ffffe, v1
	v_cvt_u32_f32_e32 v1, v1
	s_nop 0
	v_readfirstlane_b32 s1, v1
	s_mul_i32 s0, s0, s1
	s_mul_hi_u32 s0, s1, s0
	s_add_i32 s1, s1, s0
	s_mul_hi_u32 s0, s2, s1
	s_mul_i32 s1, s0, s39
	s_sub_i32 s1, s2, s1
	s_add_i32 s8, s0, 1
	s_sub_i32 s2, s1, s39
	s_cmp_ge_u32 s1, s39
	s_cselect_b32 s0, s8, s0
	s_cselect_b32 s1, s2, s1
	s_add_i32 s2, s0, 1
	s_cmp_ge_u32 s1, s39
	s_cselect_b32 s15, s2, s0
.LBB0_9:
	s_lshl_b64 s[0:1], s[6:7], 3
	s_add_u32 s6, s10, s0
	s_addc_u32 s7, s11, s1
	s_load_dwordx2 s[6:7], s[6:7], 0x0
	v_lshl_add_u32 v1, v0, 3, 0
	s_waitcnt lgkmcnt(0)
	s_mul_i32 s2, s7, s15
	s_mul_hi_u32 s7, s6, s15
	s_add_i32 s7, s7, s2
	s_mul_i32 s2, s6, s15
	s_add_u32 s2, s2, s38
	s_addc_u32 s3, s7, s3
	s_add_u32 s0, s24, s0
	s_addc_u32 s1, s25, s1
	s_load_dwordx2 s[0:1], s[0:1], 0x0
	s_add_i32 s23, s23, 1
	s_cmp_le_u32 s23, s33
	s_mov_b64 s[6:7], -1
	s_cbranch_scc0 .LBB0_11
; %bb.10:
	s_movk_i32 s6, 0x271
	v_add_u32_e32 v2, 0xfffffd8f, v0
	v_cmp_gt_u32_e32 vcc, s6, v0
	v_mov_b32_e32 v10, s22
	s_movk_i32 s8, 0x1f4
	v_cndmask_b32_e32 v5, v2, v0, vcc
	v_mad_u64_u32 v[2:3], s[6:7], s20, v5, 0
	v_mov_b32_e32 v4, v3
	v_mad_u64_u32 v[4:5], s[6:7], s21, v5, v[4:5]
	s_movk_i32 s6, 0x270
	s_nop 0
	v_cmp_lt_u32_e32 vcc, s6, v0
	s_lshl_b64 s[6:7], s[2:3], 3
	s_add_u32 s6, s16, s6
	v_mov_b32_e32 v3, v4
	s_addc_u32 s7, s17, s7
	v_mov_b32_e32 v5, 0
	v_cndmask_b32_e32 v4, 0, v10, vcc
	v_lshl_add_u64 v[2:3], v[2:3], 3, s[6:7]
	v_lshl_add_u64 v[2:3], v[4:5], 3, v[2:3]
	v_mov_b32_e32 v4, 0xfffffe0c
	v_mov_b32_e32 v6, 0x7d
	v_cmp_gt_u32_e32 vcc, s8, v0
	v_add_u32_e32 v12, 0x177, v0
	s_nop 0
	v_cndmask_b32_e32 v4, v4, v6, vcc
	v_add_u32_e32 v8, v0, v4
	v_mad_u64_u32 v[6:7], s[8:9], s20, v8, 0
	v_mov_b32_e32 v4, v7
	v_mad_u64_u32 v[8:9], s[8:9], s21, v8, v[4:5]
	s_movk_i32 s8, 0x1f3
	s_nop 0
	v_cmp_lt_u32_e32 vcc, s8, v0
	v_mov_b32_e32 v7, v8
	v_lshl_add_u64 v[6:7], v[6:7], 3, s[6:7]
	v_cndmask_b32_e32 v4, 0, v10, vcc
	v_add_u32_e32 v10, 0xfa, v0
	v_mad_u64_u32 v[8:9], s[8:9], s20, v10, 0
	v_lshl_add_u64 v[6:7], v[4:5], 3, v[6:7]
	v_mov_b32_e32 v4, v9
	v_mad_u64_u32 v[10:11], s[8:9], s21, v10, v[4:5]
	v_mov_b32_e32 v9, v10
	v_mad_u64_u32 v[10:11], s[8:9], s20, v12, 0
	;; [unrolled: 2-line block ×3, first 2 shown]
	v_mov_b32_e32 v11, v12
	v_lshl_add_u64 v[8:9], v[8:9], 3, s[6:7]
	v_lshl_add_u64 v[10:11], v[10:11], 3, s[6:7]
	global_load_dwordx2 v[12:13], v[2:3], off
	global_load_dwordx2 v[14:15], v[6:7], off
	;; [unrolled: 1-line block ×4, first 2 shown]
	v_add_u32_e32 v2, 0x1f4, v0
	v_mul_u32_u24_e32 v3, 0x69, v2
	v_lshrrev_b32_e32 v8, 16, v3
	v_mul_lo_u16_e32 v3, 0x271, v8
	v_sub_u16_e32 v6, v2, v3
	v_mad_u64_u32 v[2:3], s[8:9], s20, v6, 0
	v_mov_b32_e32 v4, v3
	v_mad_u64_u32 v[6:7], s[8:9], s21, v6, v[4:5]
	v_mov_b32_e32 v3, v6
	v_mul_lo_u32 v4, s22, v8
	v_lshl_add_u64 v[2:3], v[2:3], 3, s[6:7]
	v_lshl_add_u64 v[2:3], v[4:5], 3, v[2:3]
	global_load_dwordx2 v[2:3], v[2:3], off
	v_lshl_add_u32 v4, v0, 3, 0
	v_add_u32_e32 v5, 0x400, v4
	s_mov_b64 s[6:7], 0
	s_waitcnt vmcnt(3)
	ds_write2_b64 v4, v[12:13], v[14:15] offset1:125
	s_waitcnt vmcnt(1)
	ds_write2_b64 v5, v[16:17], v[18:19] offset0:122 offset1:247
	s_waitcnt vmcnt(0)
	ds_write_b64 v4, v[2:3] offset:4000
.LBB0_11:
	s_andn2_b64 vcc, exec, s[6:7]
	s_cbranch_vccnz .LBB0_16
; %bb.12:
	s_movk_i32 s6, 0x271
	v_cmp_gt_u32_e32 vcc, s6, v0
	s_and_saveexec_b64 s[6:7], vcc
	s_cbranch_execz .LBB0_15
; %bb.13:
	v_mad_u64_u32 v[2:3], s[8:9], s20, v0, 0
	v_mov_b32_e32 v4, v3
	s_lshl_b64 s[2:3], s[2:3], 3
	v_mad_u64_u32 v[4:5], s[8:9], s21, v0, v[4:5]
	s_add_u32 s2, s16, s2
	v_mov_b32_e32 v3, v4
	s_addc_u32 s3, s17, s3
	v_lshl_add_u64 v[2:3], v[2:3], 3, s[2:3]
	s_mul_i32 s2, s21, 0x3e8
	s_mul_hi_u32 s3, s20, 0x3e8
	s_add_i32 s3, s3, s2
	s_mul_i32 s2, s20, 0x3e8
	s_mov_b64 s[8:9], 0
	s_movk_i32 s10, 0x270
	v_mov_b32_e32 v4, v0
	v_mov_b32_e32 v5, v1
.LBB0_14:                               ; =>This Inner Loop Header: Depth=1
	global_load_dwordx2 v[6:7], v[2:3], off
	v_add_u32_e32 v4, 0x7d, v4
	v_cmp_lt_u32_e32 vcc, s10, v4
	v_lshl_add_u64 v[2:3], v[2:3], 0, s[2:3]
	s_or_b64 s[8:9], vcc, s[8:9]
	s_waitcnt vmcnt(0)
	ds_write_b64 v5, v[6:7]
	v_add_u32_e32 v5, 0x3e8, v5
	s_andn2_b64 exec, exec, s[8:9]
	s_cbranch_execnz .LBB0_14
.LBB0_15:
	s_or_b64 exec, exec, s[6:7]
.LBB0_16:
	v_mul_u32_u24_e32 v2, 0x20d, v0
	s_movk_i32 s2, 0x7d
	v_mul_lo_u16_sdwa v2, v2, s2 dst_sel:DWORD dst_unused:UNUSED_PAD src0_sel:WORD_1 src1_sel:DWORD
	v_sub_u16_e32 v30, v0, v2
	v_lshl_add_u32 v31, v30, 3, 0
	v_add_u32_e32 v32, 0x400, v31
	s_waitcnt lgkmcnt(0)
	s_barrier
	ds_read2_b64 v[2:5], v31 offset1:125
	ds_read2_b64 v[6:9], v32 offset0:122 offset1:247
	ds_read_b64 v[10:11], v31 offset:4000
	s_mov_b32 s6, 0x3f737871
	s_mov_b32 s8, 0x3f167918
	s_waitcnt lgkmcnt(2)
	v_pk_add_f32 v[12:13], v[2:3], v[4:5]
	s_waitcnt lgkmcnt(1)
	v_pk_add_f32 v[14:15], v[6:7], v[8:9]
	s_waitcnt lgkmcnt(0)
	v_pk_add_f32 v[16:17], v[4:5], v[10:11] neg_lo:[0,1] neg_hi:[0,1]
	v_pk_fma_f32 v[14:15], v[14:15], 0.5, v[2:3] op_sel_hi:[1,0,1] neg_lo:[1,0,0] neg_hi:[1,0,0]
	v_pk_mul_f32 v[18:19], v[16:17], s[6:7] op_sel_hi:[1,0]
	v_pk_add_f32 v[20:21], v[6:7], v[8:9] neg_lo:[0,1] neg_hi:[0,1]
	v_pk_add_f32 v[24:25], v[4:5], v[6:7] neg_lo:[0,1] neg_hi:[0,1]
	;; [unrolled: 1-line block ×3, first 2 shown]
	v_pk_mul_f32 v[22:23], v[20:21], s[8:9] op_sel_hi:[1,0]
	v_pk_add_f32 v[24:25], v[24:25], v[26:27]
	v_pk_add_f32 v[26:27], v[14:15], v[18:19] op_sel:[0,1] op_sel_hi:[1,0]
	v_pk_add_f32 v[14:15], v[14:15], v[18:19] op_sel:[0,1] op_sel_hi:[1,0] neg_lo:[0,1] neg_hi:[0,1]
	v_pk_add_f32 v[12:13], v[12:13], v[6:7]
	v_pk_add_f32 v[14:15], v[14:15], v[22:23] op_sel:[0,1] op_sel_hi:[1,0] neg_lo:[0,1] neg_hi:[0,1]
	v_pk_add_f32 v[18:19], v[26:27], v[22:23] op_sel:[0,1] op_sel_hi:[1,0]
	v_lshlrev_b32_e32 v33, 5, v30
	v_pk_add_f32 v[12:13], v[12:13], v[8:9]
	s_mov_b32 s2, 0x3e9e377a
	v_mov_b32_e32 v22, v18
	v_mov_b32_e32 v23, v15
	v_add_u32_e32 v28, v31, v33
	v_pk_add_f32 v[12:13], v[12:13], v[10:11]
	v_pk_fma_f32 v[22:23], v[24:25], s[2:3], v[22:23] op_sel_hi:[1,0,1]
	s_barrier
	ds_write2_b64 v28, v[12:13], v[22:23] offset1:1
	v_pk_add_f32 v[12:13], v[4:5], v[10:11]
	v_pk_add_f32 v[4:5], v[6:7], v[4:5] neg_lo:[0,1] neg_hi:[0,1]
	v_pk_add_f32 v[6:7], v[8:9], v[10:11] neg_lo:[0,1] neg_hi:[0,1]
	v_pk_fma_f32 v[2:3], v[12:13], 0.5, v[2:3] op_sel_hi:[1,0,1] neg_lo:[1,0,0] neg_hi:[1,0,0]
	v_pk_add_f32 v[4:5], v[4:5], v[6:7]
	v_pk_mul_f32 v[6:7], v[20:21], s[6:7] op_sel_hi:[1,0]
	v_pk_mul_f32 v[8:9], v[16:17], s[8:9] op_sel_hi:[1,0]
	v_pk_add_f32 v[10:11], v[2:3], v[6:7] op_sel:[0,1] op_sel_hi:[1,0] neg_lo:[0,1] neg_hi:[0,1]
	v_pk_add_f32 v[2:3], v[2:3], v[6:7] op_sel:[0,1] op_sel_hi:[1,0]
	v_pk_add_f32 v[6:7], v[10:11], v[8:9] op_sel:[0,1] op_sel_hi:[1,0]
	v_pk_add_f32 v[2:3], v[2:3], v[8:9] op_sel:[0,1] op_sel_hi:[1,0] neg_lo:[0,1] neg_hi:[0,1]
	v_mov_b32_e32 v8, v6
	v_mov_b32_e32 v9, v3
	;; [unrolled: 1-line block ×3, first 2 shown]
	v_pk_fma_f32 v[8:9], v[4:5], s[2:3], v[8:9] op_sel_hi:[1,0,1]
	v_pk_fma_f32 v[2:3], v[4:5], s[2:3], v[2:3] op_sel_hi:[1,0,1]
	v_mov_b32_e32 v15, v19
	ds_write2_b64 v28, v[8:9], v[2:3] offset0:2 offset1:3
	v_pk_fma_f32 v[2:3], v[24:25], s[2:3], v[14:15] op_sel_hi:[1,0,1]
	ds_write_b64 v28, v[2:3] offset:32
	v_mul_lo_u16_e32 v2, 0x67, v30
	v_lshrrev_b16_e32 v10, 9, v2
	v_mul_lo_u16_e32 v2, 5, v10
	v_sub_u16_e32 v11, v30, v2
	v_mov_b32_e32 v34, 5
	v_lshlrev_b32_sdwa v12, v34, v11 dst_sel:DWORD dst_unused:UNUSED_PAD src0_sel:DWORD src1_sel:BYTE_0
	s_waitcnt lgkmcnt(0)
	s_barrier
	global_load_dwordx4 v[2:5], v12, s[4:5]
	global_load_dwordx4 v[6:9], v12, s[4:5] offset:16
	v_mov_b32_e32 v35, 3
	v_mul_u32_u24_e32 v10, 0xc8, v10
	v_lshlrev_b32_sdwa v11, v35, v11 dst_sel:DWORD dst_unused:UNUSED_PAD src0_sel:DWORD src1_sel:BYTE_0
	v_add_u32_e32 v36, 0x800, v31
	v_add3_u32 v37, 0, v10, v11
	ds_read2_b32 v[18:19], v31 offset1:1
	ds_read2_b64 v[10:13], v31 offset0:125 offset1:250
	ds_read2_b64 v[14:17], v36 offset0:119 offset1:244
	s_waitcnt lgkmcnt(0)
	s_barrier
	s_mul_i32 s1, s1, s15
	s_waitcnt vmcnt(1)
	v_pk_mul_f32 v[20:21], v[2:3], v[10:11] op_sel:[0,1]
	v_pk_mul_f32 v[22:23], v[4:5], v[12:13] op_sel:[0,1]
	s_waitcnt vmcnt(0)
	v_pk_mul_f32 v[24:25], v[6:7], v[14:15] op_sel:[0,1]
	v_pk_mul_f32 v[26:27], v[8:9], v[16:17] op_sel:[0,1]
	v_pk_fma_f32 v[28:29], v[2:3], v[10:11], v[20:21] op_sel:[0,0,1] op_sel_hi:[1,1,0] neg_lo:[0,0,1] neg_hi:[0,0,1]
	v_pk_fma_f32 v[2:3], v[2:3], v[10:11], v[20:21] op_sel:[0,0,1] op_sel_hi:[1,0,0]
	v_pk_fma_f32 v[10:11], v[4:5], v[12:13], v[22:23] op_sel:[0,0,1] op_sel_hi:[1,1,0] neg_lo:[0,0,1] neg_hi:[0,0,1]
	v_pk_fma_f32 v[4:5], v[4:5], v[12:13], v[22:23] op_sel:[0,0,1] op_sel_hi:[1,0,0]
	;; [unrolled: 2-line block ×4, first 2 shown]
	v_mov_b32_e32 v29, v3
	v_mov_b32_e32 v11, v5
	;; [unrolled: 1-line block ×4, first 2 shown]
	v_pk_add_f32 v[4:5], v[10:11], v[12:13]
	v_pk_add_f32 v[6:7], v[28:29], v[14:15] neg_lo:[0,1] neg_hi:[0,1]
	v_pk_fma_f32 v[4:5], v[4:5], 0.5, v[18:19] op_sel_hi:[1,0,1] neg_lo:[1,0,0] neg_hi:[1,0,0]
	v_pk_mul_f32 v[8:9], v[6:7], s[6:7] op_sel_hi:[1,0]
	v_pk_add_f32 v[16:17], v[10:11], v[12:13] neg_lo:[0,1] neg_hi:[0,1]
	v_pk_add_f32 v[22:23], v[28:29], v[10:11] neg_lo:[0,1] neg_hi:[0,1]
	;; [unrolled: 1-line block ×3, first 2 shown]
	v_pk_add_f32 v[2:3], v[28:29], v[18:19]
	v_pk_mul_f32 v[20:21], v[16:17], s[8:9] op_sel_hi:[1,0]
	v_pk_add_f32 v[22:23], v[22:23], v[24:25]
	v_pk_add_f32 v[24:25], v[4:5], v[8:9] op_sel:[0,1] op_sel_hi:[1,0]
	v_pk_add_f32 v[4:5], v[4:5], v[8:9] op_sel:[0,1] op_sel_hi:[1,0] neg_lo:[0,1] neg_hi:[0,1]
	v_pk_add_f32 v[2:3], v[2:3], v[10:11]
	v_pk_add_f32 v[4:5], v[4:5], v[20:21] op_sel:[0,1] op_sel_hi:[1,0] neg_lo:[0,1] neg_hi:[0,1]
	v_pk_add_f32 v[8:9], v[24:25], v[20:21] op_sel:[0,1] op_sel_hi:[1,0]
	v_pk_add_f32 v[2:3], v[2:3], v[12:13]
	v_mov_b32_e32 v20, v8
	v_mov_b32_e32 v21, v5
	v_pk_add_f32 v[2:3], v[2:3], v[14:15]
	v_pk_fma_f32 v[20:21], v[22:23], s[2:3], v[20:21] op_sel_hi:[1,0,1]
	ds_write2_b64 v37, v[2:3], v[20:21] offset1:5
	v_pk_add_f32 v[2:3], v[28:29], v[14:15]
	v_pk_add_f32 v[10:11], v[10:11], v[28:29] neg_lo:[0,1] neg_hi:[0,1]
	v_pk_add_f32 v[12:13], v[12:13], v[14:15] neg_lo:[0,1] neg_hi:[0,1]
	v_pk_fma_f32 v[2:3], v[2:3], 0.5, v[18:19] op_sel_hi:[1,0,1] neg_lo:[1,0,0] neg_hi:[1,0,0]
	v_pk_add_f32 v[10:11], v[10:11], v[12:13]
	v_pk_mul_f32 v[12:13], v[16:17], s[6:7] op_sel_hi:[1,0]
	v_pk_mul_f32 v[6:7], v[6:7], s[8:9] op_sel_hi:[1,0]
	v_pk_add_f32 v[14:15], v[2:3], v[12:13] op_sel:[0,1] op_sel_hi:[1,0] neg_lo:[0,1] neg_hi:[0,1]
	v_pk_add_f32 v[2:3], v[2:3], v[12:13] op_sel:[0,1] op_sel_hi:[1,0]
	v_mov_b32_e32 v5, v9
	v_pk_add_f32 v[2:3], v[2:3], v[6:7] op_sel:[0,1] op_sel_hi:[1,0] neg_lo:[0,1] neg_hi:[0,1]
	v_pk_add_f32 v[6:7], v[14:15], v[6:7] op_sel:[0,1] op_sel_hi:[1,0]
	v_mov_b32_e32 v13, v3
	v_mov_b32_e32 v12, v6
	;; [unrolled: 1-line block ×3, first 2 shown]
	v_pk_fma_f32 v[12:13], v[10:11], s[2:3], v[12:13] op_sel_hi:[1,0,1]
	v_pk_fma_f32 v[2:3], v[10:11], s[2:3], v[2:3] op_sel_hi:[1,0,1]
	ds_write2_b64 v37, v[12:13], v[2:3] offset0:10 offset1:15
	v_pk_fma_f32 v[2:3], v[22:23], s[2:3], v[4:5] op_sel_hi:[1,0,1]
	ds_write_b64 v37, v[2:3] offset:160
	v_mul_lo_u16_e32 v2, 41, v30
	v_lshrrev_b16_e32 v10, 10, v2
	v_mul_lo_u16_e32 v2, 25, v10
	v_sub_u16_e32 v11, v30, v2
	v_lshlrev_b32_sdwa v12, v34, v11 dst_sel:DWORD dst_unused:UNUSED_PAD src0_sel:DWORD src1_sel:BYTE_0
	s_waitcnt lgkmcnt(0)
	s_barrier
	global_load_dwordx4 v[2:5], v12, s[4:5] offset:160
	global_load_dwordx4 v[6:9], v12, s[4:5] offset:176
	v_mul_u32_u24_e32 v10, 0x3e8, v10
	v_lshlrev_b32_sdwa v11, v35, v11 dst_sel:DWORD dst_unused:UNUSED_PAD src0_sel:DWORD src1_sel:BYTE_0
	v_add3_u32 v30, 0, v10, v11
	ds_read2_b32 v[18:19], v31 offset1:1
	ds_read2_b64 v[10:13], v31 offset0:125 offset1:250
	ds_read2_b64 v[14:17], v36 offset0:119 offset1:244
	s_waitcnt lgkmcnt(0)
	s_barrier
	s_waitcnt vmcnt(1)
	v_pk_mul_f32 v[20:21], v[2:3], v[10:11] op_sel:[0,1]
	v_pk_mul_f32 v[22:23], v[4:5], v[12:13] op_sel:[0,1]
	s_waitcnt vmcnt(0)
	v_pk_mul_f32 v[24:25], v[6:7], v[14:15] op_sel:[0,1]
	v_pk_mul_f32 v[26:27], v[8:9], v[16:17] op_sel:[0,1]
	v_pk_fma_f32 v[28:29], v[2:3], v[10:11], v[20:21] op_sel:[0,0,1] op_sel_hi:[1,1,0] neg_lo:[0,0,1] neg_hi:[0,0,1]
	v_pk_fma_f32 v[2:3], v[2:3], v[10:11], v[20:21] op_sel:[0,0,1] op_sel_hi:[1,0,0]
	v_pk_fma_f32 v[10:11], v[4:5], v[12:13], v[22:23] op_sel:[0,0,1] op_sel_hi:[1,1,0] neg_lo:[0,0,1] neg_hi:[0,0,1]
	v_pk_fma_f32 v[4:5], v[4:5], v[12:13], v[22:23] op_sel:[0,0,1] op_sel_hi:[1,0,0]
	;; [unrolled: 2-line block ×4, first 2 shown]
	v_mov_b32_e32 v29, v3
	v_mov_b32_e32 v11, v5
	;; [unrolled: 1-line block ×4, first 2 shown]
	v_pk_add_f32 v[4:5], v[10:11], v[12:13]
	v_pk_add_f32 v[6:7], v[28:29], v[14:15] neg_lo:[0,1] neg_hi:[0,1]
	v_pk_add_f32 v[8:9], v[10:11], v[12:13] neg_lo:[0,1] neg_hi:[0,1]
	;; [unrolled: 1-line block ×4, first 2 shown]
	v_pk_fma_f32 v[4:5], v[4:5], 0.5, v[18:19] op_sel_hi:[1,0,1] neg_lo:[1,0,0] neg_hi:[1,0,0]
	v_pk_mul_f32 v[22:23], v[6:7], s[6:7] op_sel_hi:[1,0]
	v_pk_add_f32 v[2:3], v[28:29], v[18:19]
	v_pk_mul_f32 v[24:25], v[8:9], s[8:9] op_sel_hi:[1,0]
	v_pk_add_f32 v[16:17], v[16:17], v[20:21]
	v_pk_add_f32 v[20:21], v[4:5], v[22:23] op_sel:[0,1] op_sel_hi:[1,0]
	v_pk_add_f32 v[4:5], v[4:5], v[22:23] op_sel:[0,1] op_sel_hi:[1,0] neg_lo:[0,1] neg_hi:[0,1]
	v_pk_add_f32 v[2:3], v[2:3], v[10:11]
	v_pk_add_f32 v[4:5], v[4:5], v[24:25] op_sel:[0,1] op_sel_hi:[1,0] neg_lo:[0,1] neg_hi:[0,1]
	v_pk_add_f32 v[20:21], v[20:21], v[24:25] op_sel:[0,1] op_sel_hi:[1,0]
	v_pk_add_f32 v[2:3], v[2:3], v[12:13]
	v_mov_b32_e32 v22, v20
	v_mov_b32_e32 v23, v5
	v_pk_add_f32 v[2:3], v[2:3], v[14:15]
	v_pk_fma_f32 v[22:23], v[16:17], s[2:3], v[22:23] op_sel_hi:[1,0,1]
	ds_write2_b64 v30, v[2:3], v[22:23] offset1:25
	v_pk_add_f32 v[2:3], v[28:29], v[14:15]
	v_pk_add_f32 v[10:11], v[10:11], v[28:29] neg_lo:[0,1] neg_hi:[0,1]
	v_pk_fma_f32 v[2:3], v[2:3], 0.5, v[18:19] op_sel_hi:[1,0,1] neg_lo:[1,0,0] neg_hi:[1,0,0]
	v_pk_add_f32 v[12:13], v[12:13], v[14:15] neg_lo:[0,1] neg_hi:[0,1]
	v_pk_mul_f32 v[8:9], v[8:9], s[6:7] op_sel_hi:[1,0]
	v_pk_add_f32 v[10:11], v[10:11], v[12:13]
	v_pk_mul_f32 v[6:7], v[6:7], s[8:9] op_sel_hi:[1,0]
	v_pk_add_f32 v[12:13], v[2:3], v[8:9] op_sel:[0,1] op_sel_hi:[1,0] neg_lo:[0,1] neg_hi:[0,1]
	v_pk_add_f32 v[2:3], v[2:3], v[8:9] op_sel:[0,1] op_sel_hi:[1,0]
	v_mov_b32_e32 v5, v21
	v_pk_add_f32 v[2:3], v[2:3], v[6:7] op_sel:[0,1] op_sel_hi:[1,0] neg_lo:[0,1] neg_hi:[0,1]
	v_pk_add_f32 v[6:7], v[12:13], v[6:7] op_sel:[0,1] op_sel_hi:[1,0]
	v_mov_b32_e32 v9, v3
	v_mov_b32_e32 v8, v6
	;; [unrolled: 1-line block ×3, first 2 shown]
	v_pk_fma_f32 v[8:9], v[10:11], s[2:3], v[8:9] op_sel_hi:[1,0,1]
	v_pk_fma_f32 v[2:3], v[10:11], s[2:3], v[2:3] op_sel_hi:[1,0,1]
	ds_write2_b64 v30, v[8:9], v[2:3] offset0:50 offset1:75
	v_pk_fma_f32 v[2:3], v[16:17], s[2:3], v[4:5] op_sel_hi:[1,0,1]
	ds_write_b64 v30, v[2:3] offset:800
	s_waitcnt lgkmcnt(0)
	s_barrier
	global_load_dwordx4 v[2:5], v33, s[4:5] offset:960
	global_load_dwordx4 v[6:9], v33, s[4:5] offset:976
	ds_read2_b32 v[18:19], v31 offset1:1
	ds_read2_b64 v[10:13], v31 offset0:125 offset1:250
	ds_read2_b64 v[14:17], v36 offset0:119 offset1:244
	s_mul_hi_u32 s3, s0, s15
	s_mul_i32 s0, s0, s15
	s_add_i32 s1, s3, s1
	s_waitcnt lgkmcnt(0)
	s_barrier
	s_lshl_b64 s[0:1], s[0:1], 3
	s_waitcnt vmcnt(1)
	v_pk_mul_f32 v[20:21], v[2:3], v[10:11] op_sel:[0,1]
	v_pk_mul_f32 v[22:23], v[4:5], v[12:13] op_sel:[0,1]
	s_waitcnt vmcnt(0)
	v_pk_mul_f32 v[24:25], v[6:7], v[14:15] op_sel:[0,1]
	v_pk_mul_f32 v[26:27], v[8:9], v[16:17] op_sel:[0,1]
	v_pk_fma_f32 v[28:29], v[2:3], v[10:11], v[20:21] op_sel:[0,0,1] op_sel_hi:[1,1,0] neg_lo:[0,0,1] neg_hi:[0,0,1]
	v_pk_fma_f32 v[2:3], v[2:3], v[10:11], v[20:21] op_sel:[0,0,1] op_sel_hi:[1,0,0]
	v_pk_fma_f32 v[10:11], v[4:5], v[12:13], v[22:23] op_sel:[0,0,1] op_sel_hi:[1,1,0] neg_lo:[0,0,1] neg_hi:[0,0,1]
	v_pk_fma_f32 v[4:5], v[4:5], v[12:13], v[22:23] op_sel:[0,0,1] op_sel_hi:[1,0,0]
	;; [unrolled: 2-line block ×4, first 2 shown]
	v_mov_b32_e32 v29, v3
	v_mov_b32_e32 v11, v5
	;; [unrolled: 1-line block ×4, first 2 shown]
	v_pk_add_f32 v[2:3], v[28:29], v[18:19]
	v_pk_add_f32 v[4:5], v[10:11], v[12:13]
	v_pk_add_f32 v[6:7], v[28:29], v[14:15] neg_lo:[0,1] neg_hi:[0,1]
	v_pk_add_f32 v[8:9], v[10:11], v[12:13] neg_lo:[0,1] neg_hi:[0,1]
	;; [unrolled: 1-line block ×3, first 2 shown]
	v_pk_add_f32 v[22:23], v[28:29], v[14:15]
	v_pk_add_f32 v[24:25], v[10:11], v[28:29] neg_lo:[0,1] neg_hi:[0,1]
	v_pk_add_f32 v[2:3], v[2:3], v[10:11]
	v_pk_fma_f32 v[4:5], v[4:5], 0.5, v[18:19] op_sel_hi:[1,0,1] neg_lo:[1,0,0] neg_hi:[1,0,0]
	v_pk_mul_f32 v[10:11], v[6:7], s[6:7] op_sel_hi:[1,0]
	v_pk_add_f32 v[20:21], v[14:15], v[12:13] neg_lo:[0,1] neg_hi:[0,1]
	v_pk_add_f32 v[26:27], v[12:13], v[14:15] neg_lo:[0,1] neg_hi:[0,1]
	v_pk_mul_f32 v[28:29], v[8:9], s[8:9] op_sel_hi:[1,0]
	v_pk_fma_f32 v[18:19], v[22:23], 0.5, v[18:19] op_sel_hi:[1,0,1] neg_lo:[1,0,0] neg_hi:[1,0,0]
	v_pk_mul_f32 v[8:9], v[8:9], s[6:7] op_sel_hi:[1,0]
	v_pk_add_f32 v[2:3], v[2:3], v[12:13]
	v_pk_add_f32 v[12:13], v[4:5], v[10:11] op_sel:[0,1] op_sel_hi:[1,0]
	v_pk_add_f32 v[4:5], v[4:5], v[10:11] op_sel:[0,1] op_sel_hi:[1,0] neg_lo:[0,1] neg_hi:[0,1]
	v_pk_mul_f32 v[6:7], v[6:7], s[8:9] op_sel_hi:[1,0]
	v_pk_add_f32 v[10:11], v[18:19], v[8:9] op_sel:[0,1] op_sel_hi:[1,0] neg_lo:[0,1] neg_hi:[0,1]
	v_pk_add_f32 v[8:9], v[18:19], v[8:9] op_sel:[0,1] op_sel_hi:[1,0]
	v_pk_add_f32 v[4:5], v[4:5], v[28:29] op_sel:[0,1] op_sel_hi:[1,0] neg_lo:[0,1] neg_hi:[0,1]
	v_pk_add_f32 v[12:13], v[12:13], v[28:29] op_sel:[0,1] op_sel_hi:[1,0]
	v_pk_add_f32 v[16:17], v[16:17], v[20:21]
	v_pk_add_f32 v[8:9], v[8:9], v[6:7] op_sel:[0,1] op_sel_hi:[1,0] neg_lo:[0,1] neg_hi:[0,1]
	v_pk_add_f32 v[6:7], v[10:11], v[6:7] op_sel:[0,1] op_sel_hi:[1,0]
	v_mov_b32_e32 v10, v12
	v_mov_b32_e32 v11, v5
	v_pk_add_f32 v[20:21], v[24:25], v[26:27]
	v_pk_add_f32 v[2:3], v[2:3], v[14:15]
	v_mov_b32_e32 v14, v6
	v_mov_b32_e32 v15, v9
	;; [unrolled: 1-line block ×3, first 2 shown]
	v_pk_fma_f32 v[6:7], v[16:17], s[2:3], v[10:11] op_sel_hi:[1,0,1]
	v_mov_b32_e32 v5, v13
	v_pk_fma_f32 v[10:11], v[20:21], s[2:3], v[14:15] op_sel_hi:[1,0,1]
	v_pk_fma_f32 v[8:9], v[20:21], s[2:3], v[8:9] op_sel_hi:[1,0,1]
	ds_write2_b64 v31, v[2:3], v[6:7] offset1:125
	ds_write2_b64 v32, v[10:11], v[8:9] offset0:122 offset1:247
	v_pk_fma_f32 v[2:3], v[16:17], s[2:3], v[4:5] op_sel_hi:[1,0,1]
	ds_write_b64 v31, v[2:3] offset:4000
	s_waitcnt lgkmcnt(0)
	s_barrier
	s_add_u32 s2, s18, s0
	ds_read2_b64 v[2:5], v1 offset1:125
	s_addc_u32 s3, s19, s1
	s_lshl_b64 s[0:1], s[12:13], 3
	s_add_u32 s0, s2, s0
	v_mul_lo_u32 v10, v0, s14
	v_mov_b32_e32 v11, 0
	s_addc_u32 s1, s3, s1
	v_lshl_add_u64 v[6:7], v[10:11], 3, s[0:1]
	v_add_u32_e32 v0, 0x400, v1
	s_waitcnt lgkmcnt(0)
	global_store_dwordx2 v[6:7], v[2:3], off
	ds_read2_b64 v[6:9], v0 offset0:122 offset1:247
	s_mul_i32 s2, s14, 0x7d
	v_add_u32_e32 v10, s2, v10
	ds_read_b64 v[0:1], v1 offset:4000
	v_lshl_add_u64 v[2:3], v[10:11], 3, s[0:1]
	v_add_u32_e32 v10, s2, v10
	global_store_dwordx2 v[2:3], v[4:5], off
	v_lshl_add_u64 v[2:3], v[10:11], 3, s[0:1]
	v_add_u32_e32 v10, s2, v10
	s_waitcnt lgkmcnt(1)
	global_store_dwordx2 v[2:3], v[6:7], off
	v_lshl_add_u64 v[2:3], v[10:11], 3, s[0:1]
	v_add_u32_e32 v10, s2, v10
	global_store_dwordx2 v[2:3], v[8:9], off
	v_lshl_add_u64 v[2:3], v[10:11], 3, s[0:1]
	s_waitcnt lgkmcnt(0)
	global_store_dwordx2 v[2:3], v[0:1], off
	s_endpgm
	.section	.rodata,"a",@progbits
	.p2align	6, 0x0
	.amdhsa_kernel fft_rtc_fwd_len625_factors_5_5_5_5_wgs_125_tpt_125_sp_op_CI_CI_sbrc_unaligned
		.amdhsa_group_segment_fixed_size 0
		.amdhsa_private_segment_fixed_size 0
		.amdhsa_kernarg_size 104
		.amdhsa_user_sgpr_count 2
		.amdhsa_user_sgpr_dispatch_ptr 0
		.amdhsa_user_sgpr_queue_ptr 0
		.amdhsa_user_sgpr_kernarg_segment_ptr 1
		.amdhsa_user_sgpr_dispatch_id 0
		.amdhsa_user_sgpr_kernarg_preload_length 0
		.amdhsa_user_sgpr_kernarg_preload_offset 0
		.amdhsa_user_sgpr_private_segment_size 0
		.amdhsa_uses_dynamic_stack 0
		.amdhsa_enable_private_segment 0
		.amdhsa_system_sgpr_workgroup_id_x 1
		.amdhsa_system_sgpr_workgroup_id_y 0
		.amdhsa_system_sgpr_workgroup_id_z 0
		.amdhsa_system_sgpr_workgroup_info 0
		.amdhsa_system_vgpr_workitem_id 0
		.amdhsa_next_free_vgpr 38
		.amdhsa_next_free_sgpr 43
		.amdhsa_accum_offset 40
		.amdhsa_reserve_vcc 1
		.amdhsa_float_round_mode_32 0
		.amdhsa_float_round_mode_16_64 0
		.amdhsa_float_denorm_mode_32 3
		.amdhsa_float_denorm_mode_16_64 3
		.amdhsa_dx10_clamp 1
		.amdhsa_ieee_mode 1
		.amdhsa_fp16_overflow 0
		.amdhsa_tg_split 0
		.amdhsa_exception_fp_ieee_invalid_op 0
		.amdhsa_exception_fp_denorm_src 0
		.amdhsa_exception_fp_ieee_div_zero 0
		.amdhsa_exception_fp_ieee_overflow 0
		.amdhsa_exception_fp_ieee_underflow 0
		.amdhsa_exception_fp_ieee_inexact 0
		.amdhsa_exception_int_div_zero 0
	.end_amdhsa_kernel
	.text
.Lfunc_end0:
	.size	fft_rtc_fwd_len625_factors_5_5_5_5_wgs_125_tpt_125_sp_op_CI_CI_sbrc_unaligned, .Lfunc_end0-fft_rtc_fwd_len625_factors_5_5_5_5_wgs_125_tpt_125_sp_op_CI_CI_sbrc_unaligned
                                        ; -- End function
	.section	.AMDGPU.csdata,"",@progbits
; Kernel info:
; codeLenInByte = 3964
; NumSgprs: 49
; NumVgprs: 38
; NumAgprs: 0
; TotalNumVgprs: 38
; ScratchSize: 0
; MemoryBound: 0
; FloatMode: 240
; IeeeMode: 1
; LDSByteSize: 0 bytes/workgroup (compile time only)
; SGPRBlocks: 6
; VGPRBlocks: 4
; NumSGPRsForWavesPerEU: 49
; NumVGPRsForWavesPerEU: 38
; AccumOffset: 40
; Occupancy: 8
; WaveLimiterHint : 1
; COMPUTE_PGM_RSRC2:SCRATCH_EN: 0
; COMPUTE_PGM_RSRC2:USER_SGPR: 2
; COMPUTE_PGM_RSRC2:TRAP_HANDLER: 0
; COMPUTE_PGM_RSRC2:TGID_X_EN: 1
; COMPUTE_PGM_RSRC2:TGID_Y_EN: 0
; COMPUTE_PGM_RSRC2:TGID_Z_EN: 0
; COMPUTE_PGM_RSRC2:TIDIG_COMP_CNT: 0
; COMPUTE_PGM_RSRC3_GFX90A:ACCUM_OFFSET: 9
; COMPUTE_PGM_RSRC3_GFX90A:TG_SPLIT: 0
	.text
	.p2alignl 6, 3212836864
	.fill 256, 4, 3212836864
	.type	__hip_cuid_2143d248a9c1ced0,@object ; @__hip_cuid_2143d248a9c1ced0
	.section	.bss,"aw",@nobits
	.globl	__hip_cuid_2143d248a9c1ced0
__hip_cuid_2143d248a9c1ced0:
	.byte	0                               ; 0x0
	.size	__hip_cuid_2143d248a9c1ced0, 1

	.ident	"AMD clang version 19.0.0git (https://github.com/RadeonOpenCompute/llvm-project roc-6.4.0 25133 c7fe45cf4b819c5991fe208aaa96edf142730f1d)"
	.section	".note.GNU-stack","",@progbits
	.addrsig
	.addrsig_sym __hip_cuid_2143d248a9c1ced0
	.amdgpu_metadata
---
amdhsa.kernels:
  - .agpr_count:     0
    .args:
      - .actual_access:  read_only
        .address_space:  global
        .offset:         0
        .size:           8
        .value_kind:     global_buffer
      - .offset:         8
        .size:           8
        .value_kind:     by_value
      - .actual_access:  read_only
        .address_space:  global
        .offset:         16
        .size:           8
        .value_kind:     global_buffer
      - .actual_access:  read_only
        .address_space:  global
        .offset:         24
        .size:           8
        .value_kind:     global_buffer
      - .actual_access:  read_only
        .address_space:  global
        .offset:         32
        .size:           8
        .value_kind:     global_buffer
      - .offset:         40
        .size:           8
        .value_kind:     by_value
      - .actual_access:  read_only
        .address_space:  global
        .offset:         48
        .size:           8
        .value_kind:     global_buffer
      - .actual_access:  read_only
        .address_space:  global
        .offset:         56
        .size:           8
        .value_kind:     global_buffer
      - .offset:         64
        .size:           4
        .value_kind:     by_value
      - .actual_access:  read_only
        .address_space:  global
        .offset:         72
        .size:           8
        .value_kind:     global_buffer
      - .actual_access:  read_only
        .address_space:  global
        .offset:         80
        .size:           8
        .value_kind:     global_buffer
      - .actual_access:  read_only
        .address_space:  global
        .offset:         88
        .size:           8
        .value_kind:     global_buffer
      - .actual_access:  write_only
        .address_space:  global
        .offset:         96
        .size:           8
        .value_kind:     global_buffer
    .group_segment_fixed_size: 0
    .kernarg_segment_align: 8
    .kernarg_segment_size: 104
    .language:       OpenCL C
    .language_version:
      - 2
      - 0
    .max_flat_workgroup_size: 125
    .name:           fft_rtc_fwd_len625_factors_5_5_5_5_wgs_125_tpt_125_sp_op_CI_CI_sbrc_unaligned
    .private_segment_fixed_size: 0
    .sgpr_count:     49
    .sgpr_spill_count: 0
    .symbol:         fft_rtc_fwd_len625_factors_5_5_5_5_wgs_125_tpt_125_sp_op_CI_CI_sbrc_unaligned.kd
    .uniform_work_group_size: 1
    .uses_dynamic_stack: false
    .vgpr_count:     38
    .vgpr_spill_count: 0
    .wavefront_size: 64
amdhsa.target:   amdgcn-amd-amdhsa--gfx950
amdhsa.version:
  - 1
  - 2
...

	.end_amdgpu_metadata
